;; amdgpu-corpus repo=ROCm/rocFFT kind=compiled arch=gfx906 opt=O3
	.text
	.amdgcn_target "amdgcn-amd-amdhsa--gfx906"
	.amdhsa_code_object_version 6
	.protected	fft_rtc_fwd_len320_factors_10_4_4_2_wgs_64_tpt_16_halfLds_sp_op_CI_CI_unitstride_sbrr_dirReg ; -- Begin function fft_rtc_fwd_len320_factors_10_4_4_2_wgs_64_tpt_16_halfLds_sp_op_CI_CI_unitstride_sbrr_dirReg
	.globl	fft_rtc_fwd_len320_factors_10_4_4_2_wgs_64_tpt_16_halfLds_sp_op_CI_CI_unitstride_sbrr_dirReg
	.p2align	8
	.type	fft_rtc_fwd_len320_factors_10_4_4_2_wgs_64_tpt_16_halfLds_sp_op_CI_CI_unitstride_sbrr_dirReg,@function
fft_rtc_fwd_len320_factors_10_4_4_2_wgs_64_tpt_16_halfLds_sp_op_CI_CI_unitstride_sbrr_dirReg: ; @fft_rtc_fwd_len320_factors_10_4_4_2_wgs_64_tpt_16_halfLds_sp_op_CI_CI_unitstride_sbrr_dirReg
; %bb.0:
	s_load_dwordx4 s[8:11], s[4:5], 0x58
	s_load_dwordx4 s[12:15], s[4:5], 0x0
	;; [unrolled: 1-line block ×3, first 2 shown]
	v_lshrrev_b32_e32 v10, 4, v0
	v_mov_b32_e32 v1, 0
	v_mov_b32_e32 v56, 0
	s_waitcnt lgkmcnt(0)
	v_cmp_lt_u64_e64 s[0:1], s[14:15], 2
	v_lshl_or_b32 v7, s6, 2, v10
	v_mov_b32_e32 v8, v1
	s_and_b64 vcc, exec, s[0:1]
	v_mov_b32_e32 v57, 0
	s_cbranch_vccnz .LBB0_8
; %bb.1:
	s_load_dwordx2 s[0:1], s[4:5], 0x10
	s_add_u32 s2, s18, 8
	s_addc_u32 s3, s19, 0
	s_add_u32 s6, s16, 8
	s_addc_u32 s7, s17, 0
	v_mov_b32_e32 v56, 0
	s_waitcnt lgkmcnt(0)
	s_add_u32 s20, s0, 8
	v_mov_b32_e32 v57, 0
	v_mov_b32_e32 v3, v56
	s_addc_u32 s21, s1, 0
	s_mov_b64 s[22:23], 1
	v_mov_b32_e32 v4, v57
.LBB0_2:                                ; =>This Inner Loop Header: Depth=1
	s_load_dwordx2 s[24:25], s[20:21], 0x0
                                        ; implicit-def: $vgpr5_vgpr6
	s_waitcnt lgkmcnt(0)
	v_or_b32_e32 v2, s25, v8
	v_cmp_ne_u64_e32 vcc, 0, v[1:2]
	s_and_saveexec_b64 s[0:1], vcc
	s_xor_b64 s[26:27], exec, s[0:1]
	s_cbranch_execz .LBB0_4
; %bb.3:                                ;   in Loop: Header=BB0_2 Depth=1
	v_cvt_f32_u32_e32 v2, s24
	v_cvt_f32_u32_e32 v5, s25
	s_sub_u32 s0, 0, s24
	s_subb_u32 s1, 0, s25
	v_mac_f32_e32 v2, 0x4f800000, v5
	v_rcp_f32_e32 v2, v2
	v_mul_f32_e32 v2, 0x5f7ffffc, v2
	v_mul_f32_e32 v5, 0x2f800000, v2
	v_trunc_f32_e32 v5, v5
	v_mac_f32_e32 v2, 0xcf800000, v5
	v_cvt_u32_f32_e32 v5, v5
	v_cvt_u32_f32_e32 v2, v2
	v_mul_lo_u32 v6, s0, v5
	v_mul_hi_u32 v9, s0, v2
	v_mul_lo_u32 v12, s1, v2
	v_mul_lo_u32 v11, s0, v2
	v_add_u32_e32 v6, v9, v6
	v_add_u32_e32 v6, v6, v12
	v_mul_hi_u32 v9, v2, v11
	v_mul_lo_u32 v12, v2, v6
	v_mul_hi_u32 v14, v2, v6
	v_mul_hi_u32 v13, v5, v11
	v_mul_lo_u32 v11, v5, v11
	v_mul_hi_u32 v15, v5, v6
	v_add_co_u32_e32 v9, vcc, v9, v12
	v_addc_co_u32_e32 v12, vcc, 0, v14, vcc
	v_mul_lo_u32 v6, v5, v6
	v_add_co_u32_e32 v9, vcc, v9, v11
	v_addc_co_u32_e32 v9, vcc, v12, v13, vcc
	v_addc_co_u32_e32 v11, vcc, 0, v15, vcc
	v_add_co_u32_e32 v6, vcc, v9, v6
	v_addc_co_u32_e32 v9, vcc, 0, v11, vcc
	v_add_co_u32_e32 v2, vcc, v2, v6
	v_addc_co_u32_e32 v5, vcc, v5, v9, vcc
	v_mul_lo_u32 v6, s0, v5
	v_mul_hi_u32 v9, s0, v2
	v_mul_lo_u32 v11, s1, v2
	v_mul_lo_u32 v12, s0, v2
	v_add_u32_e32 v6, v9, v6
	v_add_u32_e32 v6, v6, v11
	v_mul_lo_u32 v13, v2, v6
	v_mul_hi_u32 v14, v2, v12
	v_mul_hi_u32 v15, v2, v6
	v_mul_hi_u32 v11, v5, v12
	v_mul_lo_u32 v12, v5, v12
	v_mul_hi_u32 v9, v5, v6
	v_add_co_u32_e32 v13, vcc, v14, v13
	v_addc_co_u32_e32 v14, vcc, 0, v15, vcc
	v_mul_lo_u32 v6, v5, v6
	v_add_co_u32_e32 v12, vcc, v13, v12
	v_addc_co_u32_e32 v11, vcc, v14, v11, vcc
	v_addc_co_u32_e32 v9, vcc, 0, v9, vcc
	v_add_co_u32_e32 v6, vcc, v11, v6
	v_addc_co_u32_e32 v9, vcc, 0, v9, vcc
	v_add_co_u32_e32 v2, vcc, v2, v6
	v_addc_co_u32_e32 v9, vcc, v5, v9, vcc
	v_mad_u64_u32 v[5:6], s[0:1], v7, v9, 0
	v_mul_hi_u32 v11, v7, v2
	v_add_co_u32_e32 v13, vcc, v11, v5
	v_addc_co_u32_e32 v14, vcc, 0, v6, vcc
	v_mad_u64_u32 v[5:6], s[0:1], v8, v2, 0
	v_mad_u64_u32 v[11:12], s[0:1], v8, v9, 0
	v_add_co_u32_e32 v2, vcc, v13, v5
	v_addc_co_u32_e32 v2, vcc, v14, v6, vcc
	v_addc_co_u32_e32 v5, vcc, 0, v12, vcc
	v_add_co_u32_e32 v2, vcc, v2, v11
	v_addc_co_u32_e32 v9, vcc, 0, v5, vcc
	v_mul_lo_u32 v11, s25, v2
	v_mul_lo_u32 v12, s24, v9
	v_mad_u64_u32 v[5:6], s[0:1], s24, v2, 0
	v_add3_u32 v6, v6, v12, v11
	v_sub_u32_e32 v11, v8, v6
	v_mov_b32_e32 v12, s25
	v_sub_co_u32_e32 v5, vcc, v7, v5
	v_subb_co_u32_e64 v11, s[0:1], v11, v12, vcc
	v_subrev_co_u32_e64 v12, s[0:1], s24, v5
	v_subbrev_co_u32_e64 v11, s[0:1], 0, v11, s[0:1]
	v_cmp_le_u32_e64 s[0:1], s25, v11
	v_cndmask_b32_e64 v13, 0, -1, s[0:1]
	v_cmp_le_u32_e64 s[0:1], s24, v12
	v_cndmask_b32_e64 v12, 0, -1, s[0:1]
	v_cmp_eq_u32_e64 s[0:1], s25, v11
	v_cndmask_b32_e64 v11, v13, v12, s[0:1]
	v_add_co_u32_e64 v12, s[0:1], 2, v2
	v_addc_co_u32_e64 v13, s[0:1], 0, v9, s[0:1]
	v_add_co_u32_e64 v14, s[0:1], 1, v2
	v_addc_co_u32_e64 v15, s[0:1], 0, v9, s[0:1]
	v_subb_co_u32_e32 v6, vcc, v8, v6, vcc
	v_cmp_ne_u32_e64 s[0:1], 0, v11
	v_cmp_le_u32_e32 vcc, s25, v6
	v_cndmask_b32_e64 v11, v15, v13, s[0:1]
	v_cndmask_b32_e64 v13, 0, -1, vcc
	v_cmp_le_u32_e32 vcc, s24, v5
	v_cndmask_b32_e64 v5, 0, -1, vcc
	v_cmp_eq_u32_e32 vcc, s25, v6
	v_cndmask_b32_e32 v5, v13, v5, vcc
	v_cmp_ne_u32_e32 vcc, 0, v5
	v_cndmask_b32_e64 v5, v14, v12, s[0:1]
	v_cndmask_b32_e32 v6, v9, v11, vcc
	v_cndmask_b32_e32 v5, v2, v5, vcc
.LBB0_4:                                ;   in Loop: Header=BB0_2 Depth=1
	s_andn2_saveexec_b64 s[0:1], s[26:27]
	s_cbranch_execz .LBB0_6
; %bb.5:                                ;   in Loop: Header=BB0_2 Depth=1
	v_cvt_f32_u32_e32 v2, s24
	s_sub_i32 s26, 0, s24
	v_rcp_iflag_f32_e32 v2, v2
	v_mul_f32_e32 v2, 0x4f7ffffe, v2
	v_cvt_u32_f32_e32 v2, v2
	v_mul_lo_u32 v5, s26, v2
	v_mul_hi_u32 v5, v2, v5
	v_add_u32_e32 v2, v2, v5
	v_mul_hi_u32 v2, v7, v2
	v_mul_lo_u32 v5, v2, s24
	v_add_u32_e32 v6, 1, v2
	v_sub_u32_e32 v5, v7, v5
	v_subrev_u32_e32 v9, s24, v5
	v_cmp_le_u32_e32 vcc, s24, v5
	v_cndmask_b32_e32 v5, v5, v9, vcc
	v_cndmask_b32_e32 v2, v2, v6, vcc
	v_add_u32_e32 v6, 1, v2
	v_cmp_le_u32_e32 vcc, s24, v5
	v_cndmask_b32_e32 v5, v2, v6, vcc
	v_mov_b32_e32 v6, v1
.LBB0_6:                                ;   in Loop: Header=BB0_2 Depth=1
	s_or_b64 exec, exec, s[0:1]
	v_mul_lo_u32 v2, v6, s24
	v_mul_lo_u32 v9, v5, s25
	v_mad_u64_u32 v[11:12], s[0:1], v5, s24, 0
	s_load_dwordx2 s[0:1], s[6:7], 0x0
	s_load_dwordx2 s[24:25], s[2:3], 0x0
	v_add3_u32 v2, v12, v9, v2
	v_sub_co_u32_e32 v7, vcc, v7, v11
	v_subb_co_u32_e32 v2, vcc, v8, v2, vcc
	s_waitcnt lgkmcnt(0)
	v_mul_lo_u32 v8, s0, v2
	v_mul_lo_u32 v9, s1, v7
	v_mad_u64_u32 v[56:57], s[0:1], s0, v7, v[56:57]
	s_add_u32 s22, s22, 1
	s_addc_u32 s23, s23, 0
	s_add_u32 s2, s2, 8
	v_mul_lo_u32 v2, s24, v2
	v_mul_lo_u32 v11, s25, v7
	v_mad_u64_u32 v[3:4], s[0:1], s24, v7, v[3:4]
	v_add3_u32 v57, v9, v57, v8
	s_addc_u32 s3, s3, 0
	v_mov_b32_e32 v7, s14
	s_add_u32 s6, s6, 8
	v_mov_b32_e32 v8, s15
	s_addc_u32 s7, s7, 0
	v_cmp_ge_u64_e32 vcc, s[22:23], v[7:8]
	s_add_u32 s20, s20, 8
	v_add3_u32 v4, v11, v4, v2
	s_addc_u32 s21, s21, 0
	s_cbranch_vccnz .LBB0_9
; %bb.7:                                ;   in Loop: Header=BB0_2 Depth=1
	v_mov_b32_e32 v8, v6
	v_mov_b32_e32 v7, v5
	s_branch .LBB0_2
.LBB0_8:
	v_mov_b32_e32 v3, v56
	v_mov_b32_e32 v5, v7
	;; [unrolled: 1-line block ×4, first 2 shown]
.LBB0_9:
	s_load_dwordx2 s[0:1], s[4:5], 0x28
	s_lshl_b64 s[6:7], s[14:15], 3
	s_add_u32 s2, s18, s6
	s_addc_u32 s3, s19, s7
	v_and_b32_e32 v1, 15, v0
	s_waitcnt lgkmcnt(0)
	v_cmp_gt_u64_e32 vcc, s[0:1], v[5:6]
	v_cmp_le_u64_e64 s[0:1], s[0:1], v[5:6]
                                        ; implicit-def: $vgpr7
                                        ; implicit-def: $vgpr13
                                        ; implicit-def: $vgpr14
                                        ; implicit-def: $vgpr9
                                        ; implicit-def: $vgpr15
                                        ; implicit-def: $vgpr11
                                        ; implicit-def: $vgpr16
                                        ; implicit-def: $vgpr12
                                        ; implicit-def: $vgpr17
	s_and_saveexec_b64 s[4:5], s[0:1]
	s_xor_b64 s[0:1], exec, s[4:5]
; %bb.10:
	v_and_b32_e32 v1, 15, v0
	v_or_b32_e32 v7, 16, v1
	v_or_b32_e32 v13, 0x50, v1
	;; [unrolled: 1-line block ×9, first 2 shown]
                                        ; implicit-def: $vgpr56_vgpr57
; %bb.11:
	s_or_saveexec_b64 s[4:5], s[0:1]
                                        ; implicit-def: $vgpr21
                                        ; implicit-def: $vgpr47
                                        ; implicit-def: $vgpr39
                                        ; implicit-def: $vgpr41
                                        ; implicit-def: $vgpr49
                                        ; implicit-def: $vgpr43
                                        ; implicit-def: $vgpr45
                                        ; implicit-def: $vgpr51
                                        ; implicit-def: $vgpr19
                                        ; implicit-def: $vgpr25
                                        ; implicit-def: $vgpr55
                                        ; implicit-def: $vgpr29
                                        ; implicit-def: $vgpr33
                                        ; implicit-def: $vgpr31
                                        ; implicit-def: $vgpr37
                                        ; implicit-def: $vgpr35
                                        ; implicit-def: $vgpr27
                                        ; implicit-def: $vgpr23
                                        ; implicit-def: $vgpr53
                                        ; implicit-def: $vgpr58
	s_xor_b64 exec, exec, s[4:5]
	s_cbranch_execz .LBB0_13
; %bb.12:
	s_add_u32 s0, s16, s6
	s_addc_u32 s1, s17, s7
	s_load_dwordx2 s[0:1], s[0:1], 0x0
	v_mov_b32_e32 v9, s9
	v_lshlrev_b64 v[11:12], 3, v[56:57]
	v_or_b32_e32 v14, 0x60, v1
	v_or_b32_e32 v16, 0x80, v1
	s_waitcnt lgkmcnt(0)
	v_mul_lo_u32 v0, s1, v5
	v_mul_lo_u32 v2, s0, v6
	v_mad_u64_u32 v[7:8], s[0:1], s0, v5, 0
	v_or_b32_e32 v13, 0x50, v1
	v_or_b32_e32 v15, 0x70, v1
	v_add3_u32 v8, v8, v2, v0
	v_lshlrev_b64 v[7:8], 3, v[7:8]
	v_or_b32_e32 v17, 0x90, v1
	v_add_co_u32_e64 v0, s[0:1], s8, v7
	v_addc_co_u32_e64 v2, s[0:1], v9, v8, s[0:1]
	v_add_co_u32_e64 v0, s[0:1], v0, v11
	v_addc_co_u32_e64 v2, s[0:1], v2, v12, s[0:1]
	v_lshlrev_b32_e32 v7, 3, v1
	v_add_co_u32_e64 v7, s[0:1], v0, v7
	v_addc_co_u32_e64 v8, s[0:1], 0, v2, s[0:1]
	global_load_dwordx2 v[20:21], v[7:8], off
	global_load_dwordx2 v[38:39], v[7:8], off offset:512
	global_load_dwordx2 v[40:41], v[7:8], off offset:1024
	;; [unrolled: 1-line block ×19, first 2 shown]
	v_or_b32_e32 v9, 32, v1
	v_or_b32_e32 v12, 64, v1
	v_or_b32_e32 v7, 16, v1
	v_or_b32_e32 v11, 48, v1
.LBB0_13:
	s_or_b64 exec, exec, s[4:5]
	s_waitcnt vmcnt(17)
	v_sub_f32_e32 v0, v38, v40
	s_waitcnt vmcnt(15)
	v_sub_f32_e32 v2, v44, v42
	v_add_f32_e32 v2, v0, v2
	v_add_f32_e32 v0, v40, v42
	v_fma_f32 v62, -0.5, v0, v20
	v_add_f32_e32 v0, v38, v44
	v_add_f32_e32 v8, v20, v38
	v_fmac_f32_e32 v20, -0.5, v0
	v_sub_f32_e32 v63, v41, v43
	v_mov_b32_e32 v64, v20
	v_sub_f32_e32 v0, v40, v38
	v_sub_f32_e32 v56, v42, v44
	v_fmac_f32_e32 v64, 0xbf737871, v63
	v_sub_f32_e32 v65, v39, v45
	v_fmac_f32_e32 v20, 0x3f737871, v63
	v_add_f32_e32 v0, v0, v56
	v_fmac_f32_e32 v64, 0x3f167918, v65
	v_fmac_f32_e32 v20, 0xbf167918, v65
	;; [unrolled: 1-line block ×4, first 2 shown]
	s_waitcnt vmcnt(7)
	v_sub_f32_e32 v0, v57, v48
	s_waitcnt vmcnt(1)
	v_sub_f32_e32 v56, v50, v52
	v_add_f32_e32 v66, v56, v0
	v_add_f32_e32 v0, v48, v52
	v_fma_f32 v56, -0.5, v0, v46
	v_add_f32_e32 v0, v50, v57
	v_add_f32_e32 v60, v46, v57
	v_fmac_f32_e32 v46, -0.5, v0
	v_sub_f32_e32 v0, v48, v57
	v_sub_f32_e32 v59, v52, v50
	v_add_f32_e32 v59, v59, v0
	v_sub_f32_e32 v67, v49, v53
	v_mov_b32_e32 v0, v46
	v_fmac_f32_e32 v0, 0xbf737871, v67
	v_sub_f32_e32 v68, v58, v51
	v_fmac_f32_e32 v46, 0x3f737871, v67
	v_fmac_f32_e32 v0, 0x3f167918, v68
	;; [unrolled: 1-line block ×5, first 2 shown]
	v_sub_f32_e32 v59, v58, v49
	v_sub_f32_e32 v61, v51, v53
	v_add_f32_e32 v8, v8, v40
	v_add_f32_e32 v69, v61, v59
	;; [unrolled: 1-line block ×4, first 2 shown]
	v_fma_f32 v59, -0.5, v59, v47
	v_add_f32_e32 v61, v51, v58
	v_add_f32_e32 v74, v8, v44
	;; [unrolled: 1-line block ×4, first 2 shown]
	v_fmac_f32_e32 v47, -0.5, v61
	v_sub_f32_e32 v71, v57, v50
	v_sub_f32_e32 v72, v48, v52
	v_add_f32_e32 v8, v52, v8
	v_mov_b32_e32 v52, v59
	v_sub_f32_e32 v57, v49, v58
	v_sub_f32_e32 v58, v53, v51
	v_mov_b32_e32 v73, v47
	v_fmac_f32_e32 v47, 0xbf737871, v72
	v_add_f32_e32 v48, v50, v8
	v_mov_b32_e32 v50, v56
	v_fmac_f32_e32 v52, 0xbf737871, v71
	v_add_f32_e32 v57, v58, v57
	v_fmac_f32_e32 v73, 0x3f737871, v72
	v_fmac_f32_e32 v47, 0x3f167918, v71
	v_mov_b32_e32 v75, v62
	v_fmac_f32_e32 v50, 0x3f737871, v68
	v_fmac_f32_e32 v52, 0xbf167918, v72
	;; [unrolled: 1-line block ×5, first 2 shown]
	v_mul_u32_u24_e32 v10, 0x140, v10
	s_mov_b32 s0, 0x3f737871
	v_fmac_f32_e32 v75, 0x3f737871, v65
	v_fmac_f32_e32 v50, 0x3f167918, v67
	;; [unrolled: 1-line block ×3, first 2 shown]
	v_mul_f32_e32 v8, 0x3e9e377a, v46
	v_fmac_f32_e32 v62, 0xbf737871, v65
	v_fmac_f32_e32 v56, 0xbf167918, v67
	;; [unrolled: 1-line block ×6, first 2 shown]
	v_mul_f32_e32 v76, 0x3f167918, v52
	v_mul_f32_e32 v77, 0x3e9e377a, v0
	v_fma_f32 v78, v47, s0, -v8
	v_lshlrev_b32_e32 v8, 2, v10
	v_fmac_f32_e32 v62, 0xbf167918, v63
	v_fmac_f32_e32 v56, 0x3e9e377a, v66
	;; [unrolled: 1-line block ×6, first 2 shown]
	v_mul_u32_u24_e32 v10, 10, v1
	v_add_u32_e32 v79, 0, v8
	v_fmac_f32_e32 v62, 0x3e9e377a, v2
	v_fmac_f32_e32 v59, 0x3e9e377a, v69
	s_mov_b32 s1, 0x3f167918
	v_mul_f32_e32 v2, 0x3f4f1bbd, v56
	v_add_f32_e32 v57, v74, v48
	v_add_f32_e32 v58, v75, v76
	;; [unrolled: 1-line block ×4, first 2 shown]
	v_lshl_add_u32 v80, v10, 2, v79
	v_fma_f32 v2, v59, s1, -v2
	ds_write2_b64 v80, v[57:58], v[60:61] offset1:1
	v_sub_f32_e32 v57, v75, v76
	v_sub_f32_e32 v58, v64, v77
	;; [unrolled: 1-line block ×3, first 2 shown]
	v_add_f32_e32 v60, v62, v2
	ds_write2_b64 v80, v[60:61], v[57:58] offset0:2 offset1:3
	v_sub_f32_e32 v58, v62, v2
	v_sub_f32_e32 v2, v24, v28
	s_waitcnt vmcnt(0)
	v_sub_f32_e32 v10, v36, v32
	v_add_f32_e32 v2, v2, v10
	v_add_f32_e32 v10, v28, v32
	;; [unrolled: 1-line block ×3, first 2 shown]
	v_sub_f32_e32 v57, v20, v78
	v_fma_f32 v10, -0.5, v10, v18
	v_add_f32_e32 v20, v18, v24
	v_fmac_f32_e32 v18, -0.5, v48
	v_sub_f32_e32 v60, v29, v33
	v_mov_b32_e32 v61, v18
	ds_write_b64 v80, v[57:58] offset:32
	v_sub_f32_e32 v48, v28, v24
	v_sub_f32_e32 v57, v32, v36
	v_fmac_f32_e32 v61, 0xbf737871, v60
	v_sub_f32_e32 v62, v25, v37
	v_fmac_f32_e32 v18, 0x3f737871, v60
	v_add_f32_e32 v48, v48, v57
	v_fmac_f32_e32 v61, 0x3f167918, v62
	v_fmac_f32_e32 v18, 0xbf167918, v62
	;; [unrolled: 1-line block ×4, first 2 shown]
	v_sub_f32_e32 v48, v54, v26
	v_sub_f32_e32 v57, v34, v30
	v_add_f32_e32 v48, v57, v48
	v_add_f32_e32 v57, v30, v26
	;; [unrolled: 1-line block ×3, first 2 shown]
	v_fma_f32 v74, -0.5, v57, v22
	v_add_f32_e32 v57, v54, v22
	v_fmac_f32_e32 v22, -0.5, v58
	v_sub_f32_e32 v58, v26, v54
	v_sub_f32_e32 v63, v30, v34
	v_add_f32_e32 v58, v63, v58
	v_sub_f32_e32 v63, v27, v31
	v_mov_b32_e32 v75, v22
	v_fmac_f32_e32 v75, 0xbf737871, v63
	v_sub_f32_e32 v64, v55, v35
	v_fmac_f32_e32 v22, 0x3f737871, v63
	v_fmac_f32_e32 v75, 0x3f167918, v64
	;; [unrolled: 1-line block ×5, first 2 shown]
	v_sub_f32_e32 v58, v55, v27
	v_sub_f32_e32 v65, v35, v31
	v_add_f32_e32 v65, v65, v58
	v_add_f32_e32 v58, v31, v27
	v_fma_f32 v76, -0.5, v58, v23
	v_add_f32_e32 v58, v55, v35
	v_add_f32_e32 v77, v55, v23
	v_fmac_f32_e32 v23, -0.5, v58
	v_mov_b32_e32 v81, v74
	v_sub_f32_e32 v66, v54, v34
	v_sub_f32_e32 v67, v26, v30
	v_mov_b32_e32 v78, v23
	v_fmac_f32_e32 v81, 0x3f737871, v64
	v_mov_b32_e32 v82, v76
	v_sub_f32_e32 v54, v27, v55
	v_sub_f32_e32 v55, v31, v35
	v_fmac_f32_e32 v78, 0x3f737871, v67
	v_fmac_f32_e32 v23, 0xbf737871, v67
	v_mov_b32_e32 v68, v10
	v_add_f32_e32 v26, v26, v57
	v_fmac_f32_e32 v81, 0x3f167918, v63
	v_fmac_f32_e32 v82, 0xbf737871, v66
	;; [unrolled: 1-line block ×3, first 2 shown]
	v_add_f32_e32 v54, v55, v54
	v_fmac_f32_e32 v78, 0xbf167918, v66
	v_fmac_f32_e32 v23, 0x3f167918, v66
	v_add_f32_e32 v20, v20, v28
	v_fmac_f32_e32 v68, 0x3f737871, v62
	v_add_f32_e32 v26, v30, v26
	v_fmac_f32_e32 v81, 0x3e9e377a, v48
	v_fmac_f32_e32 v82, 0xbf167918, v67
	;; [unrolled: 1-line block ×7, first 2 shown]
	v_add_f32_e32 v20, v20, v32
	v_fmac_f32_e32 v68, 0x3f167918, v60
	v_add_f32_e32 v26, v34, v26
	v_fmac_f32_e32 v82, 0x3e9e377a, v65
	v_mul_f32_e32 v30, 0x3f4f1bbd, v81
	v_mul_f32_e32 v34, 0x3e9e377a, v75
	;; [unrolled: 1-line block ×3, first 2 shown]
	v_fmac_f32_e32 v10, 0xbf167918, v60
	v_fmac_f32_e32 v74, 0x3e9e377a, v48
	;; [unrolled: 1-line block ×3, first 2 shown]
	v_add_f32_e32 v20, v20, v36
	v_fmac_f32_e32 v68, 0x3e9e377a, v2
	v_fmac_f32_e32 v30, 0x3f167918, v82
	v_fmac_f32_e32 v34, 0x3f737871, v78
	v_fma_f32 v69, v23, s0, -v57
	v_mul_i32_i24_e32 v71, 10, v7
	v_fmac_f32_e32 v10, 0x3e9e377a, v2
	v_fmac_f32_e32 v76, 0x3e9e377a, v65
	v_mul_f32_e32 v2, 0x3f4f1bbd, v74
	v_add_f32_e32 v54, v20, v26
	v_add_f32_e32 v55, v68, v30
	;; [unrolled: 1-line block ×4, first 2 shown]
	v_lshl_add_u32 v83, v71, 2, v79
	v_fma_f32 v2, v76, s1, -v2
	ds_write2_b64 v83, v[54:55], v[57:58] offset1:1
	v_sub_f32_e32 v54, v68, v30
	v_sub_f32_e32 v55, v61, v34
	;; [unrolled: 1-line block ×3, first 2 shown]
	v_add_f32_e32 v57, v10, v2
	ds_write2_b64 v83, v[57:58], v[54:55] offset0:2 offset1:3
	v_add_f32_e32 v26, v41, v43
	v_sub_f32_e32 v54, v40, v42
	v_add_f32_e32 v40, v39, v45
	v_add_f32_e32 v20, v21, v39
	v_sub_f32_e32 v55, v38, v44
	v_add_f32_e32 v38, v49, v70
	v_fma_f32 v57, -0.5, v26, v21
	v_fmac_f32_e32 v21, -0.5, v40
	v_add_f32_e32 v38, v53, v38
	v_mov_b32_e32 v58, v21
	v_mov_b32_e32 v61, v57
	v_add_f32_e32 v20, v20, v41
	v_sub_f32_e32 v30, v39, v41
	v_sub_f32_e32 v34, v41, v39
	;; [unrolled: 1-line block ×4, first 2 shown]
	v_add_f32_e32 v51, v51, v38
	s_mov_b32 s0, 0xbf737871
	v_mul_f32_e32 v38, 0x3e9e377a, v47
	v_fmac_f32_e32 v58, 0x3f737871, v54
	v_fmac_f32_e32 v21, 0xbf737871, v54
	v_mul_f32_e32 v60, 0xbf167918, v50
	v_fmac_f32_e32 v61, 0xbf737871, v55
	v_fmac_f32_e32 v57, 0x3f737871, v55
	v_add_f32_e32 v20, v20, v43
	v_fma_f32 v53, v46, s0, -v38
	v_sub_f32_e32 v39, v10, v2
	v_sub_f32_e32 v38, v18, v69
	v_add_f32_e32 v18, v30, v41
	v_add_f32_e32 v2, v34, v42
	v_fmac_f32_e32 v58, 0xbf167918, v55
	v_fmac_f32_e32 v21, 0x3f167918, v55
	;; [unrolled: 1-line block ×3, first 2 shown]
	v_mul_f32_e32 v52, 0xbf737871, v0
	v_fmac_f32_e32 v61, 0xbf167918, v54
	s_movk_i32 s1, 0xffdc
	v_fmac_f32_e32 v57, 0x3f167918, v54
	v_add_f32_e32 v20, v20, v45
	v_fmac_f32_e32 v58, 0x3e9e377a, v2
	v_fmac_f32_e32 v21, 0x3e9e377a, v2
	;; [unrolled: 1-line block ×4, first 2 shown]
	v_lshlrev_b32_e32 v0, 2, v1
	v_mad_i32_i24 v40, v7, s1, v83
	v_fmac_f32_e32 v57, 0x3e9e377a, v18
	s_mov_b32 s1, 0xbf167918
	v_mul_f32_e32 v18, 0x3f4f1bbd, v59
	v_add_f32_e32 v47, v20, v51
	v_add_f32_e32 v48, v61, v60
	;; [unrolled: 1-line block ×4, first 2 shown]
	v_add_u32_e32 v30, v79, v0
	v_add3_u32 v0, 0, v0, v8
	v_fma_f32 v18, v56, s1, -v18
	ds_write_b64 v83, v[38:39] offset:32
	s_load_dwordx2 s[2:3], s[2:3], 0x0
	s_waitcnt lgkmcnt(0)
	; wave barrier
	s_waitcnt lgkmcnt(0)
	v_lshl_add_u32 v34, v13, 2, v79
	v_lshl_add_u32 v38, v14, 2, v79
	v_lshl_add_u32 v39, v9, 2, v79
	v_lshl_add_u32 v41, v15, 2, v79
	v_lshl_add_u32 v42, v11, 2, v79
	v_lshl_add_u32 v44, v16, 2, v79
	v_lshl_add_u32 v2, v12, 2, v79
	v_lshl_add_u32 v10, v17, 2, v79
	v_add_u32_e32 v43, 0x400, v0
	ds_read_b32 v79, v30
	ds_read_b32 v84, v34
	;; [unrolled: 1-line block ×10, first 2 shown]
	ds_read2_b32 v[63:64], v0 offset0:160 offset1:176
	ds_read2_b32 v[65:66], v0 offset0:224 offset1:240
	ds_read2_b32 v[67:68], v43 offset1:16
	ds_read2_b32 v[69:70], v0 offset0:192 offset1:208
	ds_read2_b32 v[71:72], v43 offset0:32 offset1:48
	s_waitcnt lgkmcnt(0)
	; wave barrier
	s_waitcnt lgkmcnt(0)
	ds_write2_b64 v80, v[47:48], v[49:50] offset1:1
	v_sub_f32_e32 v50, v20, v51
	v_add_f32_e32 v49, v57, v18
	v_sub_f32_e32 v20, v21, v53
	v_sub_f32_e32 v21, v57, v18
	v_add_f32_e32 v18, v19, v25
	v_add_f32_e32 v18, v18, v29
	;; [unrolled: 1-line block ×3, first 2 shown]
	ds_write_b64 v80, v[20:21] offset:32
	v_add_f32_e32 v20, v29, v33
	v_sub_f32_e32 v28, v28, v32
	v_sub_f32_e32 v21, v25, v29
	v_sub_f32_e32 v29, v29, v25
	v_sub_f32_e32 v24, v24, v36
	v_add_f32_e32 v25, v25, v37
	v_sub_f32_e32 v32, v37, v33
	v_add_f32_e32 v36, v18, v37
	v_add_f32_e32 v18, v27, v77
	;; [unrolled: 1-line block ×4, first 2 shown]
	v_fma_f32 v32, -0.5, v20, v19
	v_fmac_f32_e32 v19, -0.5, v25
	v_add_f32_e32 v27, v35, v18
	v_mov_b32_e32 v25, v19
	v_mov_b32_e32 v35, v32
	v_sub_f32_e32 v33, v33, v37
	v_fmac_f32_e32 v25, 0x3f737871, v28
	v_fmac_f32_e32 v19, 0xbf737871, v28
	;; [unrolled: 1-line block ×3, first 2 shown]
	v_mul_f32_e32 v18, 0x3e9e377a, v23
	v_add_f32_e32 v20, v29, v33
	v_fmac_f32_e32 v25, 0xbf167918, v24
	v_fmac_f32_e32 v19, 0x3f167918, v24
	v_mul_f32_e32 v29, 0xbf167918, v81
	v_mul_f32_e32 v33, 0xbf737871, v75
	v_fmac_f32_e32 v35, 0xbf167918, v28
	v_fma_f32 v18, v22, s0, -v18
	v_fmac_f32_e32 v25, 0x3e9e377a, v20
	v_fmac_f32_e32 v19, 0x3e9e377a, v20
	;; [unrolled: 1-line block ×5, first 2 shown]
	v_sub_f32_e32 v47, v61, v60
	v_sub_f32_e32 v48, v58, v52
	v_add_f32_e32 v20, v36, v27
	v_add_f32_e32 v21, v35, v29
	;; [unrolled: 1-line block ×4, first 2 shown]
	v_fmac_f32_e32 v32, 0x3f737871, v24
	ds_write2_b64 v80, v[49:50], v[47:48] offset0:2 offset1:3
	ds_write2_b64 v83, v[20:21], v[22:23] offset1:1
	v_fmac_f32_e32 v32, 0x3f167918, v28
	v_mul_f32_e32 v22, 0x3f4f1bbd, v76
	v_fmac_f32_e32 v32, 0x3e9e377a, v31
	v_fma_f32 v24, v74, s1, -v22
	v_sub_f32_e32 v20, v35, v29
	v_sub_f32_e32 v21, v25, v33
	;; [unrolled: 1-line block ×4, first 2 shown]
	v_add_f32_e32 v22, v32, v24
	v_sub_f32_e32 v19, v32, v24
	ds_write2_b64 v83, v[22:23], v[20:21] offset0:2 offset1:3
	ds_write_b64 v83, v[18:19] offset:32
	v_add_u32_e32 v18, -10, v1
	v_cmp_gt_u32_e64 s[0:1], 10, v1
	v_cndmask_b32_e64 v25, v18, v1, s[0:1]
	v_mul_i32_i24_e32 v18, 3, v25
	v_mov_b32_e32 v19, 0
	v_lshlrev_b64 v[21:22], 3, v[18:19]
	v_mov_b32_e32 v20, s13
	v_add_co_u32_e64 v27, s[0:1], s12, v21
	v_addc_co_u32_e64 v28, s[0:1], v20, v22, s[0:1]
	s_movk_i32 s0, 0xcd
	v_mul_lo_u16_sdwa v18, v7, s0 dst_sel:DWORD dst_unused:UNUSED_PAD src0_sel:BYTE_0 src1_sel:DWORD
	v_lshrrev_b16_e32 v18, 11, v18
	v_mul_lo_u16_e32 v29, 10, v18
	v_sub_u16_e32 v29, v7, v29
	v_mov_b32_e32 v31, 3
	v_mul_u32_u24_sdwa v32, v29, v31 dst_sel:DWORD dst_unused:UNUSED_PAD src0_sel:BYTE_0 src1_sel:DWORD
	v_lshlrev_b32_e32 v33, 3, v32
	v_mul_lo_u16_sdwa v32, v9, s0 dst_sel:DWORD dst_unused:UNUSED_PAD src0_sel:BYTE_0 src1_sel:DWORD
	s_waitcnt lgkmcnt(0)
	; wave barrier
	s_waitcnt lgkmcnt(0)
	global_load_dwordx4 v[21:24], v[27:28], off
	v_lshrrev_b16_e32 v37, 11, v32
	v_mul_lo_u16_e32 v32, 10, v37
	v_sub_u16_e32 v80, v9, v32
	global_load_dwordx4 v[47:50], v33, s[12:13]
	v_mul_u32_u24_sdwa v32, v80, v31 dst_sel:DWORD dst_unused:UNUSED_PAD src0_sel:BYTE_0 src1_sel:DWORD
	v_lshlrev_b32_e32 v81, 3, v32
	global_load_dwordx4 v[51:54], v81, s[12:13]
	v_mul_lo_u16_sdwa v32, v11, s0 dst_sel:DWORD dst_unused:UNUSED_PAD src0_sel:BYTE_0 src1_sel:DWORD
	v_lshrrev_b16_e32 v82, 11, v32
	v_mul_lo_u16_e32 v32, 10, v82
	v_sub_u16_e32 v83, v11, v32
	v_mul_u32_u24_sdwa v32, v83, v31 dst_sel:DWORD dst_unused:UNUSED_PAD src0_sel:BYTE_0 src1_sel:DWORD
	v_lshlrev_b32_e32 v90, 3, v32
	global_load_dwordx4 v[55:58], v90, s[12:13]
	v_mul_lo_u16_sdwa v32, v12, s0 dst_sel:DWORD dst_unused:UNUSED_PAD src0_sel:BYTE_0 src1_sel:DWORD
	v_lshrrev_b16_e32 v91, 11, v32
	v_mul_lo_u16_e32 v32, 10, v91
	v_sub_u16_e32 v92, v12, v32
	v_mul_u32_u24_sdwa v31, v92, v31 dst_sel:DWORD dst_unused:UNUSED_PAD src0_sel:BYTE_0 src1_sel:DWORD
	v_lshlrev_b32_e32 v93, 3, v31
	global_load_dwordx4 v[59:62], v93, s[12:13]
	global_load_dwordx2 v[31:32], v[27:28], off offset:16
	global_load_dwordx2 v[35:36], v33, s[12:13] offset:16
	global_load_dwordx2 v[73:74], v81, s[12:13] offset:16
	;; [unrolled: 1-line block ×4, first 2 shown]
	ds_read_b32 v33, v34
	ds_read2_b32 v[27:28], v0 offset0:160 offset1:176
	ds_read_b32 v81, v44
	ds_read_b32 v90, v42
	;; [unrolled: 1-line block ×7, first 2 shown]
	v_cmp_lt_u32_e64 s[0:1], 9, v1
	v_lshlrev_b32_e32 v25, 2, v25
	s_movk_i32 s4, 0xa0
	v_mad_u32_u24 v18, v18, s4, 0
	s_waitcnt vmcnt(9) lgkmcnt(8)
	v_mul_f32_e32 v98, v33, v22
	v_fma_f32 v98, v84, v21, -v98
	v_mul_f32_e32 v84, v84, v22
	v_fmac_f32_e32 v84, v33, v21
	s_waitcnt lgkmcnt(7)
	v_mul_f32_e32 v21, v27, v24
	v_fma_f32 v33, v63, v23, -v21
	v_mul_f32_e32 v63, v63, v24
	s_waitcnt vmcnt(8)
	v_mul_f32_e32 v21, v28, v50
	v_fmac_f32_e32 v63, v27, v23
	v_fma_f32 v27, v64, v49, -v21
	v_mul_f32_e32 v50, v64, v50
	s_waitcnt lgkmcnt(2)
	v_mul_f32_e32 v21, v95, v48
	v_fmac_f32_e32 v50, v28, v49
	v_fma_f32 v28, v86, v47, -v21
	ds_read2_b32 v[21:22], v0 offset0:192 offset1:208
	v_mul_f32_e32 v48, v86, v48
	s_waitcnt vmcnt(7)
	v_mul_f32_e32 v23, v93, v52
	v_mul_f32_e32 v49, v87, v52
	;; [unrolled: 1-line block ×3, first 2 shown]
	v_fmac_f32_e32 v48, v95, v47
	v_fma_f32 v47, v87, v51, -v23
	s_waitcnt lgkmcnt(0)
	v_mul_f32_e32 v23, v21, v54
	v_fmac_f32_e32 v52, v21, v53
	s_waitcnt vmcnt(6)
	v_mul_f32_e32 v21, v22, v58
	v_fmac_f32_e32 v49, v93, v51
	v_fma_f32 v51, v69, v53, -v23
	v_fma_f32 v53, v70, v57, -v21
	v_mul_f32_e32 v54, v70, v58
	v_mul_f32_e32 v21, v81, v56
	ds_read_b32 v23, v10
	v_mul_f32_e32 v56, v88, v56
	v_fmac_f32_e32 v54, v22, v57
	v_fma_f32 v57, v88, v55, -v21
	v_fmac_f32_e32 v56, v81, v55
	ds_read2_b32 v[21:22], v0 offset0:224 offset1:240
	ds_read_b32 v55, v2
	s_waitcnt vmcnt(5)
	v_mul_f32_e32 v64, v89, v60
	s_waitcnt lgkmcnt(2)
	v_mul_f32_e32 v24, v23, v60
	v_fmac_f32_e32 v64, v23, v59
	s_waitcnt lgkmcnt(1)
	v_mul_f32_e32 v23, v21, v62
	v_fma_f32 v58, v89, v59, -v24
	v_fma_f32 v59, v65, v61, -v23
	ds_read2_b32 v[23:24], v43 offset1:16
	v_mul_f32_e32 v65, v65, v62
	v_fmac_f32_e32 v65, v21, v61
	s_waitcnt vmcnt(4)
	v_mul_f32_e32 v21, v22, v32
	v_fma_f32 v60, v66, v31, -v21
	v_mul_f32_e32 v32, v66, v32
	s_waitcnt vmcnt(3) lgkmcnt(0)
	v_mul_f32_e32 v21, v23, v36
	v_fmac_f32_e32 v32, v22, v31
	v_fma_f32 v31, v67, v35, -v21
	ds_read2_b32 v[21:22], v43 offset0:32 offset1:48
	v_mul_f32_e32 v36, v67, v36
	v_fmac_f32_e32 v36, v23, v35
	s_waitcnt vmcnt(2)
	v_mul_f32_e32 v35, v68, v74
	s_waitcnt vmcnt(1)
	v_mul_f32_e32 v61, v71, v76
	;; [unrolled: 2-line block ×3, first 2 shown]
	v_mul_f32_e32 v23, v24, v74
	v_fmac_f32_e32 v35, v24, v73
	s_waitcnt lgkmcnt(0)
	v_mul_f32_e32 v24, v21, v76
	v_fmac_f32_e32 v61, v21, v75
	v_mul_f32_e32 v21, v22, v78
	v_fmac_f32_e32 v62, v22, v77
	v_mov_b32_e32 v22, 0xa0
	v_cndmask_b32_e64 v22, 0, v22, s[0:1]
	v_add_u32_e32 v22, 0, v22
	v_add3_u32 v22, v22, v25, v8
	v_sub_f32_e32 v25, v79, v33
	v_sub_f32_e32 v60, v98, v60
	v_fma_f32 v33, v79, 2.0, -v25
	v_sub_f32_e32 v32, v84, v32
	v_fma_f32 v66, v98, 2.0, -v60
	v_sub_f32_e32 v66, v33, v66
	v_sub_f32_e32 v67, v25, v32
	v_fma_f32 v33, v33, 2.0, -v66
	v_fma_f32 v25, v25, 2.0, -v67
	s_waitcnt lgkmcnt(0)
	; wave barrier
	ds_write2_b32 v22, v33, v25 offset1:10
	ds_write2_b32 v22, v66, v67 offset0:20 offset1:30
	v_mov_b32_e32 v25, 2
	v_lshlrev_b32_sdwa v29, v25, v29 dst_sel:DWORD dst_unused:UNUSED_PAD src0_sel:DWORD src1_sel:BYTE_0
	v_sub_f32_e32 v27, v85, v27
	v_sub_f32_e32 v33, v28, v31
	v_add3_u32 v18, v18, v29, v8
	v_fma_f32 v29, v85, 2.0, -v27
	v_sub_f32_e32 v66, v48, v36
	v_fma_f32 v28, v28, 2.0, -v33
	v_sub_f32_e32 v28, v29, v28
	v_sub_f32_e32 v31, v27, v66
	v_fma_f32 v29, v29, 2.0, -v28
	v_fma_f32 v27, v27, 2.0, -v31
	v_fma_f32 v23, v68, v73, -v23
	ds_write2_b32 v18, v29, v27 offset1:10
	ds_write2_b32 v18, v28, v31 offset0:20 offset1:30
	v_mad_u32_u24 v27, v37, s4, 0
	v_lshlrev_b32_sdwa v28, v25, v80 dst_sel:DWORD dst_unused:UNUSED_PAD src0_sel:DWORD src1_sel:BYTE_0
	v_add3_u32 v27, v27, v28, v8
	v_sub_f32_e32 v28, v46, v51
	v_sub_f32_e32 v23, v47, v23
	v_fma_f32 v29, v46, 2.0, -v28
	v_sub_f32_e32 v37, v49, v35
	v_fma_f32 v31, v47, 2.0, -v23
	v_sub_f32_e32 v31, v29, v31
	v_sub_f32_e32 v35, v28, v37
	v_fma_f32 v29, v29, 2.0, -v31
	v_fma_f32 v28, v28, 2.0, -v35
	v_fma_f32 v24, v71, v75, -v24
	ds_write2_b32 v27, v29, v28 offset1:10
	ds_write2_b32 v27, v31, v35 offset0:20 offset1:30
	v_mad_u32_u24 v28, v82, s4, 0
	v_lshlrev_b32_sdwa v29, v25, v83 dst_sel:DWORD dst_unused:UNUSED_PAD src0_sel:DWORD src1_sel:BYTE_0
	v_add3_u32 v28, v28, v29, v8
	v_sub_f32_e32 v29, v45, v53
	v_sub_f32_e32 v24, v57, v24
	v_fma_f32 v31, v45, 2.0, -v29
	v_sub_f32_e32 v45, v56, v61
	v_fma_f32 v35, v57, 2.0, -v24
	v_sub_f32_e32 v35, v31, v35
	v_sub_f32_e32 v36, v29, v45
	v_fma_f32 v31, v31, 2.0, -v35
	v_fma_f32 v29, v29, 2.0, -v36
	v_fma_f32 v21, v72, v77, -v21
	ds_write2_b32 v28, v31, v29 offset1:10
	ds_write2_b32 v28, v35, v36 offset0:20 offset1:30
	v_lshlrev_b32_sdwa v25, v25, v92 dst_sel:DWORD dst_unused:UNUSED_PAD src0_sel:DWORD src1_sel:BYTE_0
	v_mad_u32_u24 v29, v91, s4, 0
	v_add3_u32 v25, v29, v25, v8
	v_sub_f32_e32 v29, v26, v59
	v_sub_f32_e32 v21, v58, v21
	v_fma_f32 v26, v26, 2.0, -v29
	v_sub_f32_e32 v46, v64, v62
	v_fma_f32 v31, v58, 2.0, -v21
	v_sub_f32_e32 v31, v26, v31
	v_sub_f32_e32 v35, v29, v46
	v_fma_f32 v26, v26, 2.0, -v31
	v_fma_f32 v29, v29, 2.0, -v35
	ds_write2_b32 v25, v26, v29 offset1:10
	ds_write2_b32 v25, v31, v35 offset0:20 offset1:30
	v_sub_f32_e32 v29, v97, v63
	v_fma_f32 v26, v84, 2.0, -v32
	v_fma_f32 v31, v97, 2.0, -v29
	v_sub_f32_e32 v26, v31, v26
	v_add_f32_e32 v51, v29, v60
	v_fma_f32 v47, v31, 2.0, -v26
	v_fma_f32 v29, v29, 2.0, -v51
	s_waitcnt lgkmcnt(0)
	; wave barrier
	s_waitcnt lgkmcnt(0)
	ds_read_b32 v77, v30
	ds_read_b32 v78, v34
	;; [unrolled: 1-line block ×10, first 2 shown]
	ds_read2_b32 v[31:32], v0 offset0:160 offset1:176
	ds_read2_b32 v[35:36], v0 offset0:224 offset1:240
	ds_read2_b32 v[57:58], v43 offset1:16
	ds_read2_b32 v[59:60], v0 offset0:192 offset1:208
	ds_read2_b32 v[61:62], v43 offset0:32 offset1:48
	s_waitcnt lgkmcnt(0)
	; wave barrier
	s_waitcnt lgkmcnt(0)
	ds_write2_b32 v22, v47, v29 offset1:10
	ds_write2_b32 v22, v26, v51 offset0:20 offset1:30
	v_sub_f32_e32 v26, v96, v50
	v_fma_f32 v22, v48, 2.0, -v66
	v_fma_f32 v29, v96, 2.0, -v26
	v_sub_f32_e32 v22, v29, v22
	v_add_f32_e32 v33, v26, v33
	v_fma_f32 v29, v29, 2.0, -v22
	v_fma_f32 v26, v26, 2.0, -v33
	ds_write2_b32 v18, v29, v26 offset1:10
	ds_write2_b32 v18, v22, v33 offset0:20 offset1:30
	v_sub_f32_e32 v22, v94, v52
	v_fma_f32 v18, v49, 2.0, -v37
	v_fma_f32 v26, v94, 2.0, -v22
	v_sub_f32_e32 v18, v26, v18
	v_add_f32_e32 v23, v22, v23
	v_fma_f32 v26, v26, 2.0, -v18
	v_fma_f32 v22, v22, 2.0, -v23
	;; [unrolled: 9-line block ×4, first 2 shown]
	ds_write2_b32 v25, v23, v22 offset1:10
	ds_write2_b32 v25, v18, v21 offset0:20 offset1:30
	v_mul_u32_u24_e32 v18, 3, v1
	v_lshlrev_b32_e32 v29, 3, v18
	v_mul_i32_i24_e32 v18, 3, v7
	v_lshlrev_b64 v[25:26], 3, v[18:19]
	s_waitcnt lgkmcnt(0)
	; wave barrier
	s_waitcnt lgkmcnt(0)
	global_load_dwordx4 v[21:24], v29, s[12:13] offset:240
	v_add_co_u32_e64 v63, s[0:1], s12, v25
	v_addc_co_u32_e64 v64, s[0:1], v20, v26, s[0:1]
	global_load_dwordx4 v[25:28], v[63:64], off offset:240
	v_add_u32_e32 v18, -8, v1
	v_cmp_gt_u32_e64 s[0:1], 40, v9
	v_cndmask_b32_e64 v33, v18, v9, s[0:1]
	v_mul_i32_i24_e32 v18, 3, v33
	v_lshlrev_b64 v[45:46], 3, v[18:19]
	v_add_co_u32_e64 v65, s[0:1], s12, v45
	v_addc_co_u32_e64 v66, s[0:1], v20, v46, s[0:1]
	global_load_dwordx4 v[45:48], v[65:66], off offset:240
	global_load_dwordx4 v[49:52], v29, s[12:13] offset:432
	global_load_dwordx4 v[53:56], v29, s[12:13] offset:816
	global_load_dwordx2 v[67:68], v29, s[12:13] offset:256
	global_load_dwordx2 v[69:70], v[63:64], off offset:256
	global_load_dwordx2 v[71:72], v[65:66], off offset:256
	global_load_dwordx2 v[73:74], v29, s[12:13] offset:448
	global_load_dwordx2 v[75:76], v29, s[12:13] offset:832
	ds_read_b32 v18, v34
	ds_read2_b32 v[63:64], v0 offset0:160 offset1:176
	ds_read_b32 v29, v44
	ds_read_b32 v65, v42
	;; [unrolled: 1-line block ×7, first 2 shown]
	v_cmp_lt_u32_e64 s[0:1], 39, v9
	s_waitcnt vmcnt(9) lgkmcnt(8)
	v_mul_f32_e32 v89, v18, v22
	v_fma_f32 v89, v78, v21, -v89
	v_mul_f32_e32 v78, v78, v22
	v_fmac_f32_e32 v78, v18, v21
	s_waitcnt lgkmcnt(7)
	v_mul_f32_e32 v18, v63, v24
	v_mul_f32_e32 v24, v31, v24
	v_fmac_f32_e32 v24, v63, v23
	s_waitcnt vmcnt(8)
	v_mul_f32_e32 v21, v64, v28
	v_mul_f32_e32 v63, v32, v28
	v_fma_f32 v18, v31, v23, -v18
	v_fma_f32 v31, v32, v27, -v21
	v_fmac_f32_e32 v63, v64, v27
	s_waitcnt lgkmcnt(2)
	v_mul_f32_e32 v21, v20, v26
	v_mul_f32_e32 v64, v80, v26
	v_fma_f32 v27, v80, v25, -v21
	v_fmac_f32_e32 v64, v20, v25
	ds_read2_b32 v[20:21], v0 offset0:192 offset1:208
	s_waitcnt vmcnt(7)
	v_mul_f32_e32 v22, v37, v46
	v_fma_f32 v25, v82, v45, -v22
	v_mul_f32_e32 v80, v82, v46
	v_fmac_f32_e32 v80, v37, v45
	s_waitcnt lgkmcnt(0)
	v_mul_f32_e32 v22, v20, v48
	v_fma_f32 v26, v59, v47, -v22
	v_mul_f32_e32 v59, v59, v48
	v_fmac_f32_e32 v59, v20, v47
	s_waitcnt vmcnt(6)
	v_mul_f32_e32 v20, v21, v52
	v_fma_f32 v28, v60, v51, -v20
	v_mul_f32_e32 v52, v60, v52
	v_mul_f32_e32 v20, v29, v50
	ds_read_b32 v22, v10
	v_mul_f32_e32 v50, v84, v50
	v_fmac_f32_e32 v52, v21, v51
	v_fma_f32 v32, v84, v49, -v20
	v_fmac_f32_e32 v50, v29, v49
	ds_read2_b32 v[20:21], v0 offset0:224 offset1:240
	ds_read_b32 v49, v2
	s_waitcnt vmcnt(5)
	v_mul_f32_e32 v51, v86, v54
	s_waitcnt lgkmcnt(2)
	v_mul_f32_e32 v23, v22, v54
	v_fmac_f32_e32 v51, v22, v53
	s_waitcnt lgkmcnt(1)
	v_mul_f32_e32 v22, v20, v56
	v_fma_f32 v29, v86, v53, -v23
	v_fma_f32 v37, v35, v55, -v22
	ds_read2_b32 v[22:23], v43 offset1:16
	v_mul_f32_e32 v53, v35, v56
	v_fmac_f32_e32 v53, v20, v55
	s_waitcnt vmcnt(4)
	v_mul_f32_e32 v20, v21, v68
	v_fma_f32 v35, v36, v67, -v20
	v_mul_f32_e32 v36, v36, v68
	s_waitcnt vmcnt(3) lgkmcnt(0)
	v_mul_f32_e32 v20, v22, v70
	v_fmac_f32_e32 v36, v21, v67
	v_fma_f32 v45, v57, v69, -v20
	ds_read2_b32 v[20:21], v43 offset0:32 offset1:48
	v_mul_f32_e32 v46, v57, v70
	s_waitcnt vmcnt(2)
	v_mul_f32_e32 v47, v58, v72
	s_waitcnt vmcnt(1)
	;; [unrolled: 2-line block ×3, first 2 shown]
	v_mul_f32_e32 v54, v62, v76
	v_sub_f32_e32 v18, v77, v18
	v_sub_f32_e32 v35, v89, v35
	v_fmac_f32_e32 v46, v22, v69
	v_mul_f32_e32 v22, v23, v72
	v_fmac_f32_e32 v47, v23, v71
	s_waitcnt lgkmcnt(0)
	v_mul_f32_e32 v23, v20, v74
	v_fmac_f32_e32 v48, v20, v73
	v_mul_f32_e32 v20, v21, v76
	v_fmac_f32_e32 v54, v21, v75
	v_fma_f32 v21, v77, 2.0, -v18
	v_sub_f32_e32 v36, v78, v36
	v_fma_f32 v55, v89, 2.0, -v35
	v_sub_f32_e32 v55, v21, v55
	v_sub_f32_e32 v56, v18, v36
	v_fma_f32 v21, v21, 2.0, -v55
	v_fma_f32 v18, v18, 2.0, -v56
	s_waitcnt lgkmcnt(0)
	; wave barrier
	ds_write2_b32 v0, v21, v18 offset1:40
	ds_write2_b32 v0, v55, v56 offset0:80 offset1:120
	v_sub_f32_e32 v18, v79, v31
	v_sub_f32_e32 v55, v27, v45
	v_fma_f32 v21, v79, 2.0, -v18
	v_sub_f32_e32 v56, v64, v46
	v_fma_f32 v27, v27, 2.0, -v55
	v_sub_f32_e32 v27, v21, v27
	v_sub_f32_e32 v31, v18, v56
	v_fma_f32 v21, v21, 2.0, -v27
	v_fma_f32 v18, v18, 2.0, -v31
	ds_write2_b32 v40, v21, v18 offset1:40
	ds_write2_b32 v40, v27, v31 offset0:80 offset1:120
	v_mov_b32_e32 v18, 0x280
	v_cndmask_b32_e64 v18, 0, v18, s[0:1]
	v_fma_f32 v22, v58, v71, -v22
	v_add_u32_e32 v18, 0, v18
	v_lshlrev_b32_e32 v21, 2, v33
	v_add3_u32 v8, v18, v21, v8
	v_sub_f32_e32 v18, v81, v26
	v_sub_f32_e32 v57, v25, v22
	v_fma_f32 v21, v81, 2.0, -v18
	v_sub_f32_e32 v58, v80, v47
	v_fma_f32 v22, v25, 2.0, -v57
	v_sub_f32_e32 v22, v21, v22
	v_sub_f32_e32 v25, v18, v58
	v_fma_f32 v23, v61, v73, -v23
	v_fma_f32 v20, v62, v75, -v20
	v_fma_f32 v21, v21, 2.0, -v22
	v_fma_f32 v18, v18, 2.0, -v25
	ds_write2_b32 v8, v21, v18 offset1:40
	ds_write2_b32 v8, v22, v25 offset0:80 offset1:120
	v_sub_f32_e32 v18, v83, v28
	v_sub_f32_e32 v60, v32, v23
	;; [unrolled: 1-line block ×4, first 2 shown]
	v_fma_f32 v21, v83, 2.0, -v18
	v_fma_f32 v22, v32, 2.0, -v60
	;; [unrolled: 1-line block ×4, first 2 shown]
	v_sub_f32_e32 v22, v21, v22
	v_sub_f32_e32 v20, v25, v20
	v_fma_f32 v21, v21, 2.0, -v22
	v_fma_f32 v25, v25, 2.0, -v20
	v_sub_f32_e32 v62, v50, v48
	v_sub_f32_e32 v54, v51, v54
	ds_write2_b32 v0, v21, v25 offset0:168 offset1:184
	v_sub_f32_e32 v21, v18, v62
	v_sub_f32_e32 v25, v23, v54
	v_fma_f32 v18, v18, 2.0, -v21
	v_fma_f32 v23, v23, 2.0, -v25
	ds_write2_b32 v0, v18, v23 offset0:208 offset1:224
	v_add_u32_e32 v18, 0x200, v0
	ds_write2_b32 v18, v22, v20 offset0:120 offset1:136
	ds_write2_b32 v43, v21, v25 offset0:32 offset1:48
	v_sub_f32_e32 v21, v88, v24
	v_fma_f32 v20, v78, 2.0, -v36
	v_fma_f32 v22, v88, 2.0, -v21
	v_sub_f32_e32 v67, v22, v20
	v_add_f32_e32 v69, v21, v35
	v_fma_f32 v68, v22, 2.0, -v67
	v_fma_f32 v70, v21, 2.0, -v69
	s_waitcnt lgkmcnt(0)
	; wave barrier
	s_waitcnt lgkmcnt(0)
	ds_read_b32 v31, v30
	ds_read_b32 v47, v44
	;; [unrolled: 1-line block ×10, first 2 shown]
	ds_read2_b32 v[20:21], v0 offset0:160 offset1:176
	ds_read2_b32 v[22:23], v0 offset0:192 offset1:208
	;; [unrolled: 1-line block ×3, first 2 shown]
	ds_read2_b32 v[26:27], v43 offset1:16
	ds_read2_b32 v[28:29], v43 offset0:32 offset1:48
	v_sub_f32_e32 v63, v87, v63
	v_fma_f32 v56, v64, 2.0, -v56
	v_fma_f32 v64, v87, 2.0, -v63
	v_sub_f32_e32 v56, v64, v56
	v_add_f32_e32 v55, v63, v55
	v_fma_f32 v64, v64, 2.0, -v56
	v_fma_f32 v63, v63, 2.0, -v55
	s_waitcnt lgkmcnt(0)
	; wave barrier
	s_waitcnt lgkmcnt(0)
	ds_write2_b32 v0, v68, v70 offset1:40
	ds_write2_b32 v0, v67, v69 offset0:80 offset1:120
	ds_write2_b32 v40, v64, v63 offset1:40
	ds_write2_b32 v40, v56, v55 offset0:80 offset1:120
	v_sub_f32_e32 v56, v66, v59
	v_fma_f32 v55, v80, 2.0, -v58
	v_fma_f32 v58, v66, 2.0, -v56
	v_sub_f32_e32 v55, v58, v55
	v_add_f32_e32 v57, v56, v57
	v_fma_f32 v58, v58, 2.0, -v55
	v_fma_f32 v56, v56, 2.0, -v57
	ds_write2_b32 v8, v58, v56 offset1:40
	ds_write2_b32 v8, v55, v57 offset0:80 offset1:120
	v_fma_f32 v8, v50, 2.0, -v62
	v_fma_f32 v50, v51, 2.0, -v54
	v_sub_f32_e32 v51, v65, v52
	v_sub_f32_e32 v53, v49, v53
	v_fma_f32 v52, v65, 2.0, -v51
	v_fma_f32 v49, v49, 2.0, -v53
	v_sub_f32_e32 v8, v52, v8
	v_sub_f32_e32 v50, v49, v50
	v_fma_f32 v52, v52, 2.0, -v8
	v_fma_f32 v49, v49, 2.0, -v50
	ds_write2_b32 v0, v52, v49 offset0:168 offset1:184
	v_add_f32_e32 v49, v51, v60
	v_add_f32_e32 v52, v53, v61
	v_fma_f32 v51, v51, 2.0, -v49
	v_fma_f32 v53, v53, 2.0, -v52
	s_movk_i32 s0, 0x140
	ds_write2_b32 v0, v51, v53 offset0:208 offset1:224
	ds_write2_b32 v18, v8, v50 offset0:120 offset1:136
	;; [unrolled: 1-line block ×3, first 2 shown]
	s_waitcnt lgkmcnt(0)
	; wave barrier
	s_waitcnt lgkmcnt(0)
	s_and_saveexec_b64 s[6:7], vcc
	s_cbranch_execz .LBB0_15
; %bb.14:
	v_mov_b32_e32 v18, v19
	v_lshlrev_b64 v[17:18], 3, v[17:18]
	v_mov_b32_e32 v59, s13
	v_add_co_u32_e32 v17, vcc, s12, v17
	v_addc_co_u32_e32 v18, vcc, v59, v18, vcc
	global_load_dwordx2 v[49:50], v[17:18], off offset:1200
	v_mov_b32_e32 v17, v19
	v_lshlrev_b64 v[16:17], 3, v[16:17]
	ds_read2_b32 v[53:54], v43 offset0:32 offset1:48
	v_add_co_u32_e32 v16, vcc, s12, v16
	v_addc_co_u32_e32 v17, vcc, v59, v17, vcc
	global_load_dwordx2 v[17:18], v[16:17], off offset:1200
	v_mov_b32_e32 v16, v19
	v_lshlrev_b64 v[15:16], 3, v[15:16]
	v_mov_b32_e32 v8, v19
	v_add_co_u32_e32 v15, vcc, s12, v15
	v_addc_co_u32_e32 v16, vcc, v59, v16, vcc
	global_load_dwordx2 v[51:52], v[15:16], off offset:1200
	v_mov_b32_e32 v15, v19
	v_lshlrev_b64 v[14:15], 3, v[14:15]
	v_lshlrev_b64 v[7:8], 3, v[7:8]
	v_add_co_u32_e32 v14, vcc, s12, v14
	v_addc_co_u32_e32 v15, vcc, v59, v15, vcc
	global_load_dwordx2 v[15:16], v[14:15], off offset:1200
	v_mov_b32_e32 v14, v19
	v_lshlrev_b64 v[13:14], 3, v[13:14]
	s_mov_b32 s1, 0xcccccccd
	v_add_co_u32_e32 v13, vcc, s12, v13
	v_addc_co_u32_e32 v14, vcc, v59, v14, vcc
	global_load_dwordx2 v[55:56], v[13:14], off offset:1200
	v_mov_b32_e32 v13, v19
	v_lshlrev_b64 v[12:13], 3, v[12:13]
	ds_read_b32 v62, v10
	ds_read_b32 v63, v2
	v_add_co_u32_e32 v12, vcc, s12, v12
	v_addc_co_u32_e32 v13, vcc, v59, v13, vcc
	global_load_dwordx2 v[13:14], v[12:13], off offset:1200
	v_mov_b32_e32 v12, v19
	v_lshlrev_b64 v[11:12], 3, v[11:12]
	v_mov_b32_e32 v10, v19
	v_add_co_u32_e32 v11, vcc, s12, v11
	v_lshlrev_b64 v[9:10], 3, v[9:10]
	v_addc_co_u32_e32 v12, vcc, v59, v12, vcc
	v_add_co_u32_e32 v9, vcc, s12, v9
	global_load_dwordx2 v[11:12], v[11:12], off offset:1200
	v_mov_b32_e32 v2, v19
	v_addc_co_u32_e32 v10, vcc, v59, v10, vcc
	v_lshlrev_b64 v[57:58], 3, v[1:2]
	v_add_co_u32_e32 v7, vcc, s12, v7
	v_addc_co_u32_e32 v8, vcc, v59, v8, vcc
	v_add_co_u32_e32 v57, vcc, s12, v57
	v_addc_co_u32_e32 v58, vcc, v59, v58, vcc
	global_load_dwordx2 v[57:58], v[57:58], off offset:1200
	v_mul_lo_u32 v60, s3, v5
	global_load_dwordx2 v[9:10], v[9:10], off offset:1200
	v_mul_lo_u32 v61, s2, v6
	global_load_dwordx2 v[7:8], v[7:8], off offset:1200
	v_mad_u64_u32 v[5:6], s[2:3], s2, v5, 0
	ds_read_b32 v40, v40
	v_add3_u32 v6, v6, v61, v60
	v_lshlrev_b64 v[5:6], 3, v[5:6]
	v_add_co_u32_e32 v5, vcc, s10, v5
	s_waitcnt vmcnt(9)
	v_mul_f32_e32 v2, v29, v50
	s_waitcnt lgkmcnt(3)
	v_mul_f32_e32 v50, v54, v50
	v_fmac_f32_e32 v2, v54, v49
	v_fma_f32 v29, v29, v49, -v50
	s_waitcnt lgkmcnt(2)
	v_sub_f32_e32 v50, v62, v2
	ds_read_b32 v2, v44
	ds_read_b32 v54, v42
	v_sub_f32_e32 v49, v48, v29
	s_waitcnt vmcnt(8)
	v_mul_f32_e32 v29, v28, v18
	v_fmac_f32_e32 v29, v53, v17
	s_waitcnt lgkmcnt(1)
	v_sub_f32_e32 v29, v2, v29
	v_fma_f32 v42, v2, 2.0, -v29
	v_mul_f32_e32 v2, v53, v18
	v_fma_f32 v2, v28, v17, -v2
	ds_read2_b32 v[17:18], v43 offset1:16
	v_sub_f32_e32 v28, v47, v2
	ds_read_b32 v2, v41
	ds_read_b32 v53, v39
	s_waitcnt vmcnt(7)
	v_mul_f32_e32 v43, v27, v52
	s_waitcnt lgkmcnt(2)
	v_fmac_f32_e32 v43, v18, v51
	v_fma_f32 v59, v48, 2.0, -v49
	s_waitcnt lgkmcnt(1)
	v_sub_f32_e32 v44, v2, v43
	v_fma_f32 v39, v2, 2.0, -v44
	v_mul_f32_e32 v2, v18, v52
	v_fma_f32 v2, v27, v51, -v2
	v_sub_f32_e32 v43, v46, v2
	ds_read_b32 v2, v38
	s_waitcnt vmcnt(6)
	v_mul_f32_e32 v18, v26, v16
	v_fmac_f32_e32 v18, v17, v15
	v_fma_f32 v38, v46, 2.0, -v43
	v_fma_f32 v41, v47, 2.0, -v28
	s_waitcnt lgkmcnt(0)
	v_sub_f32_e32 v27, v2, v18
	v_fma_f32 v46, v2, 2.0, -v27
	v_mul_f32_e32 v2, v17, v16
	v_fma_f32 v2, v26, v15, -v2
	ds_read2_b32 v[15:16], v0 offset0:224 offset1:240
	v_sub_f32_e32 v26, v45, v2
	ds_read_b32 v2, v34
	ds_read_b32 v18, v30
	s_waitcnt vmcnt(5)
	v_mul_f32_e32 v17, v25, v56
	s_waitcnt lgkmcnt(2)
	v_fmac_f32_e32 v17, v16, v55
	v_fma_f32 v45, v45, 2.0, -v26
	s_waitcnt lgkmcnt(1)
	v_sub_f32_e32 v17, v2, v17
	v_fma_f32 v48, v2, 2.0, -v17
	v_mul_f32_e32 v2, v16, v56
	v_fma_f32 v2, v25, v55, -v2
	v_sub_f32_e32 v16, v37, v2
	s_waitcnt vmcnt(4)
	v_mul_f32_e32 v2, v24, v14
	v_fmac_f32_e32 v2, v15, v13
	v_sub_f32_e32 v25, v63, v2
	v_mul_f32_e32 v2, v15, v14
	ds_read2_b32 v[14:15], v0 offset0:192 offset1:208
	v_fma_f32 v2, v24, v13, -v2
	v_sub_f32_e32 v24, v36, v2
	s_waitcnt vmcnt(3)
	v_mul_f32_e32 v2, v23, v12
	v_fma_f32 v47, v37, 2.0, -v16
	s_waitcnt lgkmcnt(0)
	v_fmac_f32_e32 v2, v15, v11
	v_sub_f32_e32 v13, v54, v2
	v_mul_f32_e32 v2, v15, v12
	v_fma_f32 v2, v23, v11, -v2
	v_sub_f32_e32 v12, v35, v2
	v_fma_f32 v51, v35, 2.0, -v12
	ds_read2_b32 v[34:35], v0 offset0:160 offset1:176
	v_fma_f32 v52, v54, 2.0, -v13
	v_fma_f32 v37, v63, 2.0, -v25
	v_fma_f32 v36, v36, 2.0, -v24
	s_waitcnt vmcnt(1)
	v_mul_f32_e32 v2, v22, v10
	v_fmac_f32_e32 v2, v14, v9
	v_sub_f32_e32 v11, v53, v2
	v_mul_f32_e32 v2, v14, v10
	v_fma_f32 v0, v22, v9, -v2
	v_mul_hi_u32 v2, v1, s1
	v_sub_f32_e32 v10, v33, v0
	s_waitcnt vmcnt(0)
	v_mul_f32_e32 v0, v21, v8
	s_waitcnt lgkmcnt(0)
	v_fmac_f32_e32 v0, v35, v7
	v_sub_f32_e32 v9, v40, v0
	v_mul_f32_e32 v0, v35, v8
	v_fma_f32 v0, v21, v7, -v0
	v_lshrrev_b32_e32 v2, 7, v2
	v_sub_f32_e32 v8, v32, v0
	v_mul_f32_e32 v0, v20, v58
	v_mul_lo_u32 v2, v2, s4
	v_fmac_f32_e32 v0, v34, v57
	v_fma_f32 v14, v33, 2.0, -v10
	v_sub_f32_e32 v33, v18, v0
	v_mul_f32_e32 v0, v34, v58
	v_fma_f32 v0, v20, v57, -v0
	v_fma_f32 v21, v32, 2.0, -v8
	v_sub_f32_e32 v32, v31, v0
	v_sub_u32_e32 v0, v1, v2
	v_mov_b32_e32 v2, s11
	v_addc_co_u32_e32 v6, vcc, v2, v6, vcc
	v_lshlrev_b64 v[2:3], 3, v[3:4]
	v_add_u32_e32 v4, 16, v1
	v_mul_hi_u32 v7, v4, s1
	v_add_co_u32_e32 v20, vcc, v5, v2
	v_addc_co_u32_e32 v6, vcc, v6, v3, vcc
	v_lshrrev_b32_e32 v5, 7, v7
	v_mul_lo_u32 v7, v5, s4
	v_lshlrev_b32_e32 v0, 3, v0
	v_add_co_u32_e32 v2, vcc, v20, v0
	v_sub_u32_e32 v0, v4, v7
	v_mad_u64_u32 v[4:5], s[2:3], v5, s0, v[0:1]
	v_fma_f32 v35, v18, 2.0, -v33
	v_fma_f32 v34, v31, 2.0, -v32
	v_addc_co_u32_e32 v3, vcc, 0, v6, vcc
	v_mov_b32_e32 v5, v19
	v_add_u32_e32 v0, 32, v1
	global_store_dwordx2 v[2:3], v[34:35], off
	global_store_dwordx2 v[2:3], v[32:33], off offset:1280
	v_lshlrev_b64 v[2:3], 3, v[4:5]
	v_mul_hi_u32 v5, v0, s1
	v_add_co_u32_e32 v2, vcc, v20, v2
	v_fma_f32 v22, v40, 2.0, -v9
	v_lshrrev_b32_e32 v5, 7, v5
	v_mul_lo_u32 v7, v5, s4
	v_addc_co_u32_e32 v3, vcc, v6, v3, vcc
	v_add_u32_e32 v18, 0xa0, v4
	v_sub_u32_e32 v0, v0, v7
	global_store_dwordx2 v[2:3], v[21:22], off
	v_lshlrev_b64 v[2:3], 3, v[18:19]
	v_mad_u64_u32 v[4:5], s[2:3], v5, s0, v[0:1]
	v_add_co_u32_e32 v2, vcc, v20, v2
	v_addc_co_u32_e32 v3, vcc, v6, v3, vcc
	v_mov_b32_e32 v5, v19
	v_add_u32_e32 v0, 48, v1
	global_store_dwordx2 v[2:3], v[8:9], off
	v_lshlrev_b64 v[2:3], 3, v[4:5]
	v_mul_hi_u32 v5, v0, s1
	v_add_co_u32_e32 v2, vcc, v20, v2
	v_fma_f32 v15, v53, 2.0, -v11
	v_lshrrev_b32_e32 v5, 7, v5
	v_mul_lo_u32 v7, v5, s4
	v_addc_co_u32_e32 v3, vcc, v6, v3, vcc
	v_add_u32_e32 v18, 0xa0, v4
	v_sub_u32_e32 v0, v0, v7
	global_store_dwordx2 v[2:3], v[14:15], off
	v_lshlrev_b64 v[2:3], 3, v[18:19]
	v_mad_u64_u32 v[4:5], s[2:3], v5, s0, v[0:1]
	v_add_co_u32_e32 v2, vcc, v20, v2
	v_addc_co_u32_e32 v3, vcc, v6, v3, vcc
	v_mov_b32_e32 v5, v19
	v_add_u32_e32 v0, 64, v1
	global_store_dwordx2 v[2:3], v[10:11], off
	v_lshlrev_b64 v[2:3], 3, v[4:5]
	v_mul_hi_u32 v5, v0, s1
	v_add_co_u32_e32 v2, vcc, v20, v2
	v_addc_co_u32_e32 v3, vcc, v6, v3, vcc
	v_lshrrev_b32_e32 v5, 7, v5
	v_mul_lo_u32 v7, v5, s4
	v_add_u32_e32 v18, 0xa0, v4
	global_store_dwordx2 v[2:3], v[51:52], off
	v_lshlrev_b64 v[2:3], 3, v[18:19]
	v_sub_u32_e32 v0, v0, v7
	v_mad_u64_u32 v[4:5], s[2:3], v5, s0, v[0:1]
	v_add_co_u32_e32 v2, vcc, v20, v2
	v_addc_co_u32_e32 v3, vcc, v6, v3, vcc
	v_mov_b32_e32 v5, v19
	v_add_u32_e32 v0, 0x50, v1
	global_store_dwordx2 v[2:3], v[12:13], off
	v_lshlrev_b64 v[2:3], 3, v[4:5]
	v_mul_hi_u32 v5, v0, s1
	v_add_co_u32_e32 v2, vcc, v20, v2
	v_addc_co_u32_e32 v3, vcc, v6, v3, vcc
	v_lshrrev_b32_e32 v5, 7, v5
	v_mul_lo_u32 v7, v5, s4
	v_add_u32_e32 v18, 0xa0, v4
	global_store_dwordx2 v[2:3], v[36:37], off
	v_lshlrev_b64 v[2:3], 3, v[18:19]
	v_sub_u32_e32 v0, v0, v7
	;; [unrolled: 16-line block ×5, first 2 shown]
	v_mad_u64_u32 v[4:5], s[2:3], v5, s0, v[0:1]
	v_add_co_u32_e32 v2, vcc, v20, v2
	v_addc_co_u32_e32 v3, vcc, v6, v3, vcc
	v_mov_b32_e32 v5, v19
	global_store_dwordx2 v[2:3], v[43:44], off
	v_lshlrev_b64 v[2:3], 3, v[4:5]
	v_add_u32_e32 v5, 0x90, v1
	v_mul_hi_u32 v7, v5, s1
	v_add_co_u32_e32 v0, vcc, v20, v2
	v_addc_co_u32_e32 v1, vcc, v6, v3, vcc
	v_lshrrev_b32_e32 v3, 7, v7
	v_mul_lo_u32 v2, v3, s4
	v_add_u32_e32 v18, 0xa0, v4
	global_store_dwordx2 v[0:1], v[41:42], off
	v_lshlrev_b64 v[0:1], 3, v[18:19]
	v_sub_u32_e32 v2, v5, v2
	v_mad_u64_u32 v[2:3], s[0:1], v3, s0, v[2:3]
	v_add_co_u32_e32 v0, vcc, v20, v0
	v_addc_co_u32_e32 v1, vcc, v6, v1, vcc
	v_mov_b32_e32 v3, v19
	global_store_dwordx2 v[0:1], v[28:29], off
	v_lshlrev_b64 v[0:1], 3, v[2:3]
	v_fma_f32 v60, v62, 2.0, -v50
	v_add_co_u32_e32 v0, vcc, v20, v0
	v_addc_co_u32_e32 v1, vcc, v6, v1, vcc
	v_add_u32_e32 v18, 0xa0, v2
	global_store_dwordx2 v[0:1], v[59:60], off
	v_lshlrev_b64 v[0:1], 3, v[18:19]
	v_add_co_u32_e32 v0, vcc, v20, v0
	v_addc_co_u32_e32 v1, vcc, v6, v1, vcc
	global_store_dwordx2 v[0:1], v[49:50], off
.LBB0_15:
	s_endpgm
	.section	.rodata,"a",@progbits
	.p2align	6, 0x0
	.amdhsa_kernel fft_rtc_fwd_len320_factors_10_4_4_2_wgs_64_tpt_16_halfLds_sp_op_CI_CI_unitstride_sbrr_dirReg
		.amdhsa_group_segment_fixed_size 0
		.amdhsa_private_segment_fixed_size 0
		.amdhsa_kernarg_size 104
		.amdhsa_user_sgpr_count 6
		.amdhsa_user_sgpr_private_segment_buffer 1
		.amdhsa_user_sgpr_dispatch_ptr 0
		.amdhsa_user_sgpr_queue_ptr 0
		.amdhsa_user_sgpr_kernarg_segment_ptr 1
		.amdhsa_user_sgpr_dispatch_id 0
		.amdhsa_user_sgpr_flat_scratch_init 0
		.amdhsa_user_sgpr_private_segment_size 0
		.amdhsa_uses_dynamic_stack 0
		.amdhsa_system_sgpr_private_segment_wavefront_offset 0
		.amdhsa_system_sgpr_workgroup_id_x 1
		.amdhsa_system_sgpr_workgroup_id_y 0
		.amdhsa_system_sgpr_workgroup_id_z 0
		.amdhsa_system_sgpr_workgroup_info 0
		.amdhsa_system_vgpr_workitem_id 0
		.amdhsa_next_free_vgpr 99
		.amdhsa_next_free_sgpr 28
		.amdhsa_reserve_vcc 1
		.amdhsa_reserve_flat_scratch 0
		.amdhsa_float_round_mode_32 0
		.amdhsa_float_round_mode_16_64 0
		.amdhsa_float_denorm_mode_32 3
		.amdhsa_float_denorm_mode_16_64 3
		.amdhsa_dx10_clamp 1
		.amdhsa_ieee_mode 1
		.amdhsa_fp16_overflow 0
		.amdhsa_exception_fp_ieee_invalid_op 0
		.amdhsa_exception_fp_denorm_src 0
		.amdhsa_exception_fp_ieee_div_zero 0
		.amdhsa_exception_fp_ieee_overflow 0
		.amdhsa_exception_fp_ieee_underflow 0
		.amdhsa_exception_fp_ieee_inexact 0
		.amdhsa_exception_int_div_zero 0
	.end_amdhsa_kernel
	.text
.Lfunc_end0:
	.size	fft_rtc_fwd_len320_factors_10_4_4_2_wgs_64_tpt_16_halfLds_sp_op_CI_CI_unitstride_sbrr_dirReg, .Lfunc_end0-fft_rtc_fwd_len320_factors_10_4_4_2_wgs_64_tpt_16_halfLds_sp_op_CI_CI_unitstride_sbrr_dirReg
                                        ; -- End function
	.section	.AMDGPU.csdata,"",@progbits
; Kernel info:
; codeLenInByte = 8896
; NumSgprs: 32
; NumVgprs: 99
; ScratchSize: 0
; MemoryBound: 0
; FloatMode: 240
; IeeeMode: 1
; LDSByteSize: 0 bytes/workgroup (compile time only)
; SGPRBlocks: 3
; VGPRBlocks: 24
; NumSGPRsForWavesPerEU: 32
; NumVGPRsForWavesPerEU: 99
; Occupancy: 2
; WaveLimiterHint : 1
; COMPUTE_PGM_RSRC2:SCRATCH_EN: 0
; COMPUTE_PGM_RSRC2:USER_SGPR: 6
; COMPUTE_PGM_RSRC2:TRAP_HANDLER: 0
; COMPUTE_PGM_RSRC2:TGID_X_EN: 1
; COMPUTE_PGM_RSRC2:TGID_Y_EN: 0
; COMPUTE_PGM_RSRC2:TGID_Z_EN: 0
; COMPUTE_PGM_RSRC2:TIDIG_COMP_CNT: 0
	.type	__hip_cuid_387d3fa374d428fa,@object ; @__hip_cuid_387d3fa374d428fa
	.section	.bss,"aw",@nobits
	.globl	__hip_cuid_387d3fa374d428fa
__hip_cuid_387d3fa374d428fa:
	.byte	0                               ; 0x0
	.size	__hip_cuid_387d3fa374d428fa, 1

	.ident	"AMD clang version 19.0.0git (https://github.com/RadeonOpenCompute/llvm-project roc-6.4.0 25133 c7fe45cf4b819c5991fe208aaa96edf142730f1d)"
	.section	".note.GNU-stack","",@progbits
	.addrsig
	.addrsig_sym __hip_cuid_387d3fa374d428fa
	.amdgpu_metadata
---
amdhsa.kernels:
  - .args:
      - .actual_access:  read_only
        .address_space:  global
        .offset:         0
        .size:           8
        .value_kind:     global_buffer
      - .offset:         8
        .size:           8
        .value_kind:     by_value
      - .actual_access:  read_only
        .address_space:  global
        .offset:         16
        .size:           8
        .value_kind:     global_buffer
      - .actual_access:  read_only
        .address_space:  global
        .offset:         24
        .size:           8
        .value_kind:     global_buffer
      - .actual_access:  read_only
        .address_space:  global
        .offset:         32
        .size:           8
        .value_kind:     global_buffer
      - .offset:         40
        .size:           8
        .value_kind:     by_value
      - .actual_access:  read_only
        .address_space:  global
        .offset:         48
        .size:           8
        .value_kind:     global_buffer
      - .actual_access:  read_only
        .address_space:  global
        .offset:         56
        .size:           8
        .value_kind:     global_buffer
      - .offset:         64
        .size:           4
        .value_kind:     by_value
      - .actual_access:  read_only
        .address_space:  global
        .offset:         72
        .size:           8
        .value_kind:     global_buffer
      - .actual_access:  read_only
        .address_space:  global
        .offset:         80
        .size:           8
        .value_kind:     global_buffer
      - .actual_access:  read_only
        .address_space:  global
        .offset:         88
        .size:           8
        .value_kind:     global_buffer
      - .actual_access:  write_only
        .address_space:  global
        .offset:         96
        .size:           8
        .value_kind:     global_buffer
    .group_segment_fixed_size: 0
    .kernarg_segment_align: 8
    .kernarg_segment_size: 104
    .language:       OpenCL C
    .language_version:
      - 2
      - 0
    .max_flat_workgroup_size: 64
    .name:           fft_rtc_fwd_len320_factors_10_4_4_2_wgs_64_tpt_16_halfLds_sp_op_CI_CI_unitstride_sbrr_dirReg
    .private_segment_fixed_size: 0
    .sgpr_count:     32
    .sgpr_spill_count: 0
    .symbol:         fft_rtc_fwd_len320_factors_10_4_4_2_wgs_64_tpt_16_halfLds_sp_op_CI_CI_unitstride_sbrr_dirReg.kd
    .uniform_work_group_size: 1
    .uses_dynamic_stack: false
    .vgpr_count:     99
    .vgpr_spill_count: 0
    .wavefront_size: 64
amdhsa.target:   amdgcn-amd-amdhsa--gfx906
amdhsa.version:
  - 1
  - 2
...

	.end_amdgpu_metadata
